;; amdgpu-corpus repo=ROCm/rocFFT kind=compiled arch=gfx906 opt=O3
	.text
	.amdgcn_target "amdgcn-amd-amdhsa--gfx906"
	.amdhsa_code_object_version 6
	.protected	fft_rtc_back_len1331_factors_11_11_11_wgs_242_tpt_121_halfLds_sp_op_CI_CI_sbrr_dirReg ; -- Begin function fft_rtc_back_len1331_factors_11_11_11_wgs_242_tpt_121_halfLds_sp_op_CI_CI_sbrr_dirReg
	.globl	fft_rtc_back_len1331_factors_11_11_11_wgs_242_tpt_121_halfLds_sp_op_CI_CI_sbrr_dirReg
	.p2align	8
	.type	fft_rtc_back_len1331_factors_11_11_11_wgs_242_tpt_121_halfLds_sp_op_CI_CI_sbrr_dirReg,@function
fft_rtc_back_len1331_factors_11_11_11_wgs_242_tpt_121_halfLds_sp_op_CI_CI_sbrr_dirReg: ; @fft_rtc_back_len1331_factors_11_11_11_wgs_242_tpt_121_halfLds_sp_op_CI_CI_sbrr_dirReg
; %bb.0:
	s_load_dwordx4 s[16:19], s[4:5], 0x18
	s_load_dwordx4 s[12:15], s[4:5], 0x0
	;; [unrolled: 1-line block ×3, first 2 shown]
	v_mul_u32_u24_e32 v1, 0x21e, v0
	v_lshrrev_b32_e32 v31, 16, v1
	s_waitcnt lgkmcnt(0)
	s_load_dwordx2 s[20:21], s[16:17], 0x0
	s_load_dwordx2 s[2:3], s[18:19], 0x0
	v_cmp_lt_u64_e64 s[0:1], s[14:15], 2
	v_mov_b32_e32 v5, 0
	v_mov_b32_e32 v9, 0
	v_lshl_add_u32 v7, s6, 1, v31
	v_mov_b32_e32 v8, v5
	s_and_b64 vcc, exec, s[0:1]
	v_mov_b32_e32 v10, 0
	s_cbranch_vccnz .LBB0_8
; %bb.1:
	s_load_dwordx2 s[0:1], s[4:5], 0x10
	s_add_u32 s6, s18, 8
	s_addc_u32 s7, s19, 0
	s_add_u32 s22, s16, 8
	s_addc_u32 s23, s17, 0
	v_mov_b32_e32 v9, 0
	s_waitcnt lgkmcnt(0)
	s_add_u32 s24, s0, 8
	v_mov_b32_e32 v10, 0
	v_mov_b32_e32 v1, v9
	s_addc_u32 s25, s1, 0
	s_mov_b64 s[26:27], 1
	v_mov_b32_e32 v2, v10
.LBB0_2:                                ; =>This Inner Loop Header: Depth=1
	s_load_dwordx2 s[28:29], s[24:25], 0x0
                                        ; implicit-def: $vgpr3_vgpr4
	s_waitcnt lgkmcnt(0)
	v_or_b32_e32 v6, s29, v8
	v_cmp_ne_u64_e32 vcc, 0, v[5:6]
	s_and_saveexec_b64 s[0:1], vcc
	s_xor_b64 s[30:31], exec, s[0:1]
	s_cbranch_execz .LBB0_4
; %bb.3:                                ;   in Loop: Header=BB0_2 Depth=1
	v_cvt_f32_u32_e32 v3, s28
	v_cvt_f32_u32_e32 v4, s29
	s_sub_u32 s0, 0, s28
	s_subb_u32 s1, 0, s29
	v_mac_f32_e32 v3, 0x4f800000, v4
	v_rcp_f32_e32 v3, v3
	v_mul_f32_e32 v3, 0x5f7ffffc, v3
	v_mul_f32_e32 v4, 0x2f800000, v3
	v_trunc_f32_e32 v4, v4
	v_mac_f32_e32 v3, 0xcf800000, v4
	v_cvt_u32_f32_e32 v4, v4
	v_cvt_u32_f32_e32 v3, v3
	v_mul_lo_u32 v6, s0, v4
	v_mul_hi_u32 v11, s0, v3
	v_mul_lo_u32 v13, s1, v3
	v_mul_lo_u32 v12, s0, v3
	v_add_u32_e32 v6, v11, v6
	v_add_u32_e32 v6, v6, v13
	v_mul_hi_u32 v11, v3, v12
	v_mul_lo_u32 v13, v3, v6
	v_mul_hi_u32 v15, v3, v6
	v_mul_hi_u32 v14, v4, v12
	v_mul_lo_u32 v12, v4, v12
	v_mul_hi_u32 v16, v4, v6
	v_add_co_u32_e32 v11, vcc, v11, v13
	v_addc_co_u32_e32 v13, vcc, 0, v15, vcc
	v_mul_lo_u32 v6, v4, v6
	v_add_co_u32_e32 v11, vcc, v11, v12
	v_addc_co_u32_e32 v11, vcc, v13, v14, vcc
	v_addc_co_u32_e32 v12, vcc, 0, v16, vcc
	v_add_co_u32_e32 v6, vcc, v11, v6
	v_addc_co_u32_e32 v11, vcc, 0, v12, vcc
	v_add_co_u32_e32 v3, vcc, v3, v6
	v_addc_co_u32_e32 v4, vcc, v4, v11, vcc
	v_mul_lo_u32 v6, s0, v4
	v_mul_hi_u32 v11, s0, v3
	v_mul_lo_u32 v12, s1, v3
	v_mul_lo_u32 v13, s0, v3
	v_add_u32_e32 v6, v11, v6
	v_add_u32_e32 v6, v6, v12
	v_mul_lo_u32 v14, v3, v6
	v_mul_hi_u32 v15, v3, v13
	v_mul_hi_u32 v16, v3, v6
	;; [unrolled: 1-line block ×3, first 2 shown]
	v_mul_lo_u32 v13, v4, v13
	v_mul_hi_u32 v11, v4, v6
	v_add_co_u32_e32 v14, vcc, v15, v14
	v_addc_co_u32_e32 v15, vcc, 0, v16, vcc
	v_mul_lo_u32 v6, v4, v6
	v_add_co_u32_e32 v13, vcc, v14, v13
	v_addc_co_u32_e32 v12, vcc, v15, v12, vcc
	v_addc_co_u32_e32 v11, vcc, 0, v11, vcc
	v_add_co_u32_e32 v6, vcc, v12, v6
	v_addc_co_u32_e32 v11, vcc, 0, v11, vcc
	v_add_co_u32_e32 v6, vcc, v3, v6
	v_addc_co_u32_e32 v11, vcc, v4, v11, vcc
	v_mad_u64_u32 v[3:4], s[0:1], v7, v11, 0
	v_mul_hi_u32 v12, v7, v6
	v_add_co_u32_e32 v13, vcc, v12, v3
	v_addc_co_u32_e32 v14, vcc, 0, v4, vcc
	v_mad_u64_u32 v[3:4], s[0:1], v8, v6, 0
	v_mad_u64_u32 v[11:12], s[0:1], v8, v11, 0
	v_add_co_u32_e32 v3, vcc, v13, v3
	v_addc_co_u32_e32 v3, vcc, v14, v4, vcc
	v_addc_co_u32_e32 v4, vcc, 0, v12, vcc
	v_add_co_u32_e32 v6, vcc, v3, v11
	v_addc_co_u32_e32 v11, vcc, 0, v4, vcc
	v_mul_lo_u32 v12, s29, v6
	v_mul_lo_u32 v13, s28, v11
	v_mad_u64_u32 v[3:4], s[0:1], s28, v6, 0
	v_add3_u32 v4, v4, v13, v12
	v_sub_u32_e32 v12, v8, v4
	v_mov_b32_e32 v13, s29
	v_sub_co_u32_e32 v3, vcc, v7, v3
	v_subb_co_u32_e64 v12, s[0:1], v12, v13, vcc
	v_subrev_co_u32_e64 v13, s[0:1], s28, v3
	v_subbrev_co_u32_e64 v12, s[0:1], 0, v12, s[0:1]
	v_cmp_le_u32_e64 s[0:1], s29, v12
	v_cndmask_b32_e64 v14, 0, -1, s[0:1]
	v_cmp_le_u32_e64 s[0:1], s28, v13
	v_cndmask_b32_e64 v13, 0, -1, s[0:1]
	v_cmp_eq_u32_e64 s[0:1], s29, v12
	v_cndmask_b32_e64 v12, v14, v13, s[0:1]
	v_add_co_u32_e64 v13, s[0:1], 2, v6
	v_addc_co_u32_e64 v14, s[0:1], 0, v11, s[0:1]
	v_add_co_u32_e64 v15, s[0:1], 1, v6
	v_addc_co_u32_e64 v16, s[0:1], 0, v11, s[0:1]
	v_subb_co_u32_e32 v4, vcc, v8, v4, vcc
	v_cmp_ne_u32_e64 s[0:1], 0, v12
	v_cmp_le_u32_e32 vcc, s29, v4
	v_cndmask_b32_e64 v12, v16, v14, s[0:1]
	v_cndmask_b32_e64 v14, 0, -1, vcc
	v_cmp_le_u32_e32 vcc, s28, v3
	v_cndmask_b32_e64 v3, 0, -1, vcc
	v_cmp_eq_u32_e32 vcc, s29, v4
	v_cndmask_b32_e32 v3, v14, v3, vcc
	v_cmp_ne_u32_e32 vcc, 0, v3
	v_cndmask_b32_e64 v3, v15, v13, s[0:1]
	v_cndmask_b32_e32 v4, v11, v12, vcc
	v_cndmask_b32_e32 v3, v6, v3, vcc
.LBB0_4:                                ;   in Loop: Header=BB0_2 Depth=1
	s_andn2_saveexec_b64 s[0:1], s[30:31]
	s_cbranch_execz .LBB0_6
; %bb.5:                                ;   in Loop: Header=BB0_2 Depth=1
	v_cvt_f32_u32_e32 v3, s28
	s_sub_i32 s30, 0, s28
	v_rcp_iflag_f32_e32 v3, v3
	v_mul_f32_e32 v3, 0x4f7ffffe, v3
	v_cvt_u32_f32_e32 v3, v3
	v_mul_lo_u32 v4, s30, v3
	v_mul_hi_u32 v4, v3, v4
	v_add_u32_e32 v3, v3, v4
	v_mul_hi_u32 v3, v7, v3
	v_mul_lo_u32 v4, v3, s28
	v_add_u32_e32 v6, 1, v3
	v_sub_u32_e32 v4, v7, v4
	v_subrev_u32_e32 v11, s28, v4
	v_cmp_le_u32_e32 vcc, s28, v4
	v_cndmask_b32_e32 v4, v4, v11, vcc
	v_cndmask_b32_e32 v3, v3, v6, vcc
	v_add_u32_e32 v6, 1, v3
	v_cmp_le_u32_e32 vcc, s28, v4
	v_cndmask_b32_e32 v3, v3, v6, vcc
	v_mov_b32_e32 v4, v5
.LBB0_6:                                ;   in Loop: Header=BB0_2 Depth=1
	s_or_b64 exec, exec, s[0:1]
	v_mul_lo_u32 v6, v4, s28
	v_mul_lo_u32 v13, v3, s29
	v_mad_u64_u32 v[11:12], s[0:1], v3, s28, 0
	s_load_dwordx2 s[0:1], s[22:23], 0x0
	s_load_dwordx2 s[28:29], s[6:7], 0x0
	v_add3_u32 v6, v12, v13, v6
	v_sub_co_u32_e32 v7, vcc, v7, v11
	v_subb_co_u32_e32 v6, vcc, v8, v6, vcc
	s_waitcnt lgkmcnt(0)
	v_mul_lo_u32 v8, s0, v6
	v_mul_lo_u32 v11, s1, v7
	v_mad_u64_u32 v[9:10], s[0:1], s0, v7, v[9:10]
	v_mul_lo_u32 v6, s28, v6
	v_mul_lo_u32 v12, s29, v7
	v_mad_u64_u32 v[1:2], s[0:1], s28, v7, v[1:2]
	s_add_u32 s26, s26, 1
	s_addc_u32 s27, s27, 0
	s_add_u32 s6, s6, 8
	v_add3_u32 v2, v12, v2, v6
	s_addc_u32 s7, s7, 0
	v_mov_b32_e32 v6, s14
	s_add_u32 s22, s22, 8
	v_mov_b32_e32 v7, s15
	s_addc_u32 s23, s23, 0
	v_cmp_ge_u64_e32 vcc, s[26:27], v[6:7]
	s_add_u32 s24, s24, 8
	v_add3_u32 v10, v11, v10, v8
	s_addc_u32 s25, s25, 0
	s_cbranch_vccnz .LBB0_9
; %bb.7:                                ;   in Loop: Header=BB0_2 Depth=1
	v_mov_b32_e32 v8, v4
	v_mov_b32_e32 v7, v3
	s_branch .LBB0_2
.LBB0_8:
	v_mov_b32_e32 v1, v9
	v_mov_b32_e32 v3, v7
	;; [unrolled: 1-line block ×4, first 2 shown]
.LBB0_9:
	s_load_dwordx2 s[0:1], s[4:5], 0x28
	s_lshl_b64 s[14:15], s[14:15], 3
	s_add_u32 s4, s18, s14
	s_addc_u32 s5, s19, s15
                                        ; implicit-def: $sgpr18_sgpr19
                                        ; implicit-def: $sgpr22
                                        ; implicit-def: $vgpr30
	s_waitcnt lgkmcnt(0)
	v_cmp_gt_u64_e32 vcc, s[0:1], v[3:4]
	v_cmp_le_u64_e64 s[0:1], s[0:1], v[3:4]
	s_and_saveexec_b64 s[6:7], s[0:1]
	s_xor_b64 s[0:1], exec, s[6:7]
; %bb.10:
	s_mov_b32 s6, 0x21d9eae
	v_mul_hi_u32 v5, v0, s6
	s_mov_b32 s22, 0
	s_mov_b64 s[18:19], 0
                                        ; implicit-def: $vgpr9_vgpr10
	v_mul_u32_u24_e32 v5, 0x79, v5
	v_sub_u32_e32 v30, v0, v5
                                        ; implicit-def: $vgpr0
; %bb.11:
	s_or_saveexec_b64 s[6:7], s[0:1]
	v_mov_b32_e32 v11, s18
	v_mov_b32_e32 v29, s22
	;; [unrolled: 1-line block ×3, first 2 shown]
                                        ; implicit-def: $vgpr26
                                        ; implicit-def: $vgpr22
                                        ; implicit-def: $vgpr18
                                        ; implicit-def: $vgpr14
                                        ; implicit-def: $vgpr6
                                        ; implicit-def: $vgpr28
                                        ; implicit-def: $vgpr24
                                        ; implicit-def: $vgpr20
                                        ; implicit-def: $vgpr16
                                        ; implicit-def: $vgpr8
	s_xor_b64 exec, exec, s[6:7]
	s_cbranch_execz .LBB0_13
; %bb.12:
	s_add_u32 s0, s16, s14
	s_mov_b32 s14, 0x21d9eae
	v_mul_hi_u32 v5, v0, s14
	s_addc_u32 s1, s17, s15
	s_load_dwordx2 s[0:1], s[0:1], 0x0
	v_mul_u32_u24_e32 v5, 0x79, v5
	v_sub_u32_e32 v30, v0, v5
	v_mad_u64_u32 v[5:6], s[14:15], s20, v30, 0
	s_waitcnt lgkmcnt(0)
	v_mul_lo_u32 v13, s1, v3
	v_mul_lo_u32 v14, s0, v4
	v_mad_u64_u32 v[7:8], s[0:1], s0, v3, 0
	v_mov_b32_e32 v0, v6
	v_mad_u64_u32 v[11:12], s[0:1], s21, v30, v[0:1]
	v_add3_u32 v8, v8, v14, v13
	v_lshlrev_b64 v[7:8], 3, v[7:8]
	v_mov_b32_e32 v6, v11
	v_mov_b32_e32 v0, s9
	v_add_co_u32_e64 v11, s[0:1], s8, v7
	v_add_u32_e32 v12, 0x79, v30
	v_addc_co_u32_e64 v0, s[0:1], v0, v8, s[0:1]
	v_lshlrev_b64 v[7:8], 3, v[9:10]
	v_mad_u64_u32 v[9:10], s[0:1], s20, v12, 0
	v_add_co_u32_e64 v13, s[0:1], v11, v7
	v_addc_co_u32_e64 v14, s[0:1], v0, v8, s[0:1]
	v_mov_b32_e32 v0, v10
	v_mad_u64_u32 v[7:8], s[0:1], s21, v12, v[0:1]
	v_add_u32_e32 v8, 0xf2, v30
	v_mad_u64_u32 v[11:12], s[0:1], s20, v8, 0
	v_lshlrev_b64 v[5:6], 3, v[5:6]
	v_mov_b32_e32 v10, v7
	v_add_co_u32_e64 v32, s[0:1], v13, v5
	v_mov_b32_e32 v0, v12
	v_addc_co_u32_e64 v33, s[0:1], v14, v6, s[0:1]
	v_lshlrev_b64 v[5:6], 3, v[9:10]
	v_mad_u64_u32 v[7:8], s[0:1], s21, v8, v[0:1]
	v_add_u32_e32 v10, 0x16b, v30
	v_mad_u64_u32 v[8:9], s[0:1], s20, v10, 0
	v_add_co_u32_e64 v34, s[0:1], v13, v5
	v_mov_b32_e32 v0, v9
	v_addc_co_u32_e64 v35, s[0:1], v14, v6, s[0:1]
	v_mov_b32_e32 v12, v7
	v_mad_u64_u32 v[9:10], s[0:1], s21, v10, v[0:1]
	v_add_u32_e32 v7, 0x1e4, v30
	v_lshlrev_b64 v[5:6], 3, v[11:12]
	v_mad_u64_u32 v[10:11], s[0:1], s20, v7, 0
	v_add_co_u32_e64 v36, s[0:1], v13, v5
	v_mov_b32_e32 v0, v11
	v_addc_co_u32_e64 v37, s[0:1], v14, v6, s[0:1]
	v_lshlrev_b64 v[5:6], 3, v[8:9]
	v_mad_u64_u32 v[7:8], s[0:1], s21, v7, v[0:1]
	v_add_u32_e32 v12, 0x25d, v30
	v_mad_u64_u32 v[8:9], s[0:1], s20, v12, 0
	v_add_co_u32_e64 v38, s[0:1], v13, v5
	v_mov_b32_e32 v11, v7
	v_mov_b32_e32 v0, v9
	v_addc_co_u32_e64 v39, s[0:1], v14, v6, s[0:1]
	v_lshlrev_b64 v[5:6], 3, v[10:11]
	v_mad_u64_u32 v[9:10], s[0:1], s21, v12, v[0:1]
	v_add_u32_e32 v7, 0x2d6, v30
	v_mad_u64_u32 v[10:11], s[0:1], s20, v7, 0
	v_add_co_u32_e64 v40, s[0:1], v13, v5
	v_mov_b32_e32 v0, v11
	v_addc_co_u32_e64 v41, s[0:1], v14, v6, s[0:1]
	v_lshlrev_b64 v[5:6], 3, v[8:9]
	v_mad_u64_u32 v[7:8], s[0:1], s21, v7, v[0:1]
	v_add_u32_e32 v12, 0x34f, v30
	v_mad_u64_u32 v[8:9], s[0:1], s20, v12, 0
	v_add_co_u32_e64 v42, s[0:1], v13, v5
	v_mov_b32_e32 v11, v7
	v_mov_b32_e32 v0, v9
	v_addc_co_u32_e64 v43, s[0:1], v14, v6, s[0:1]
	v_lshlrev_b64 v[5:6], 3, v[10:11]
	v_mad_u64_u32 v[9:10], s[0:1], s21, v12, v[0:1]
	v_add_u32_e32 v7, 0x3c8, v30
	;; [unrolled: 15-line block ×3, first 2 shown]
	v_mad_u64_u32 v[10:11], s[0:1], s20, v7, 0
	v_add_co_u32_e64 v48, s[0:1], v13, v5
	v_mov_b32_e32 v0, v11
	v_addc_co_u32_e64 v49, s[0:1], v14, v6, s[0:1]
	v_lshlrev_b64 v[5:6], 3, v[8:9]
	v_mad_u64_u32 v[7:8], s[0:1], s21, v7, v[0:1]
	v_add_co_u32_e64 v50, s[0:1], v13, v5
	v_mov_b32_e32 v11, v7
	v_addc_co_u32_e64 v51, s[0:1], v14, v6, s[0:1]
	v_lshlrev_b64 v[5:6], 3, v[10:11]
	v_mov_b32_e32 v29, v30
	v_add_co_u32_e64 v9, s[0:1], v13, v5
	v_addc_co_u32_e64 v10, s[0:1], v14, v6, s[0:1]
	global_load_dwordx2 v[11:12], v[32:33], off
	global_load_dwordx2 v[25:26], v[34:35], off
	;; [unrolled: 1-line block ×11, first 2 shown]
.LBB0_13:
	s_or_b64 exec, exec, s[6:7]
	s_waitcnt vmcnt(9)
	v_add_f32_e32 v9, v26, v12
	v_add_f32_e32 v0, v25, v11
	s_waitcnt vmcnt(8)
	v_add_f32_e32 v9, v22, v9
	v_add_f32_e32 v0, v21, v0
	;; [unrolled: 3-line block ×8, first 2 shown]
	s_waitcnt vmcnt(1)
	v_add_f32_e32 v9, v24, v9
	s_waitcnt vmcnt(0)
	v_add_f32_e32 v32, v26, v28
	v_sub_f32_e32 v26, v26, v28
	v_add_f32_e32 v0, v23, v0
	v_add_f32_e32 v10, v28, v9
	;; [unrolled: 1-line block ×3, first 2 shown]
	v_mul_f32_e32 v33, 0xbf68dda4, v26
	s_mov_b32 s7, 0x3ed4b147
	v_add_f32_e32 v0, v27, v0
	v_sub_f32_e32 v25, v25, v27
	v_mul_f32_e32 v27, 0xbf0a6770, v26
	v_add_f32_e32 v34, v21, v23
	v_add_f32_e32 v35, v22, v24
	v_sub_f32_e32 v21, v21, v23
	v_sub_f32_e32 v22, v22, v24
	v_add_f32_e32 v23, v17, v19
	v_add_f32_e32 v24, v18, v20
	v_sub_f32_e32 v17, v17, v19
	v_sub_f32_e32 v18, v18, v20
	;; [unrolled: 4-line block ×3, first 2 shown]
	v_mov_b32_e32 v15, v33
	v_fma_f32 v16, v9, s7, -v33
	v_mul_f32_e32 v33, 0xbf7d64f0, v26
	v_mul_f32_e32 v37, 0xbf4178ce, v26
	;; [unrolled: 1-line block ×3, first 2 shown]
	s_mov_b32 s6, 0x3f575c64
	v_mov_b32_e32 v28, v27
	s_mov_b32 s8, 0xbe11bafb
	v_mov_b32_e32 v36, v33
	;; [unrolled: 2-line block ×4, first 2 shown]
	v_fmac_f32_e32 v28, 0x3f575c64, v9
	v_fma_f32 v27, v9, s6, -v27
	v_fmac_f32_e32 v15, 0x3ed4b147, v9
	v_fmac_f32_e32 v36, 0xbe11bafb, v9
	v_fma_f32 v33, v9, s8, -v33
	v_fmac_f32_e32 v38, 0xbf27a4f4, v9
	v_fma_f32 v37, v9, s9, -v37
	v_fmac_f32_e32 v39, 0xbf75a155, v9
	v_fma_f32 v9, v9, s14, -v26
	v_mul_f32_e32 v26, 0xbf0a6770, v25
	v_mul_f32_e32 v41, 0xbf68dda4, v25
	;; [unrolled: 1-line block ×5, first 2 shown]
	v_fma_f32 v40, v32, s6, -v26
	v_fmac_f32_e32 v26, 0x3f575c64, v32
	v_fma_f32 v42, v32, s7, -v41
	v_fmac_f32_e32 v41, 0x3ed4b147, v32
	;; [unrolled: 2-line block ×5, first 2 shown]
	v_add_f32_e32 v28, v28, v11
	v_add_f32_e32 v32, v40, v12
	v_add_f32_e32 v27, v27, v11
	v_add_f32_e32 v26, v26, v12
	v_add_f32_e32 v15, v15, v11
	v_add_f32_e32 v40, v42, v12
	v_add_f32_e32 v16, v16, v11
	v_add_f32_e32 v41, v41, v12
	v_add_f32_e32 v36, v36, v11
	v_add_f32_e32 v42, v44, v12
	v_add_f32_e32 v33, v33, v11
	v_add_f32_e32 v43, v43, v12
	v_add_f32_e32 v38, v38, v11
	v_add_f32_e32 v44, v46, v12
	v_add_f32_e32 v37, v37, v11
	v_add_f32_e32 v45, v45, v12
	v_add_f32_e32 v39, v39, v11
	v_add_f32_e32 v46, v47, v12
	v_add_f32_e32 v9, v9, v11
	v_add_f32_e32 v11, v25, v12
	v_mul_f32_e32 v12, 0xbf68dda4, v22
	v_mov_b32_e32 v25, v12
	v_fmac_f32_e32 v25, 0x3ed4b147, v34
	v_add_f32_e32 v25, v25, v28
	v_mul_f32_e32 v28, 0xbf68dda4, v21
	v_fma_f32 v12, v34, s7, -v12
	v_fma_f32 v47, v35, s7, -v28
	v_add_f32_e32 v12, v12, v27
	v_fmac_f32_e32 v28, 0x3ed4b147, v35
	v_mul_f32_e32 v27, 0xbf4178ce, v22
	v_add_f32_e32 v26, v28, v26
	v_mov_b32_e32 v28, v27
	v_fmac_f32_e32 v28, 0xbf27a4f4, v34
	v_add_f32_e32 v15, v28, v15
	v_mul_f32_e32 v28, 0xbf4178ce, v21
	v_add_f32_e32 v32, v47, v32
	v_fma_f32 v47, v35, s9, -v28
	v_fma_f32 v27, v34, s9, -v27
	v_fmac_f32_e32 v28, 0xbf27a4f4, v35
	v_add_f32_e32 v16, v27, v16
	v_add_f32_e32 v27, v28, v41
	v_mul_f32_e32 v28, 0x3e903f40, v22
	v_mov_b32_e32 v41, v28
	v_fmac_f32_e32 v41, 0xbf75a155, v34
	v_add_f32_e32 v36, v41, v36
	v_mul_f32_e32 v41, 0x3e903f40, v21
	v_add_f32_e32 v40, v47, v40
	v_fma_f32 v47, v35, s14, -v41
	v_fma_f32 v28, v34, s14, -v28
	v_fmac_f32_e32 v41, 0xbf75a155, v35
	v_add_f32_e32 v28, v28, v33
	v_add_f32_e32 v33, v41, v43
	v_mul_f32_e32 v41, 0x3f7d64f0, v22
	v_mov_b32_e32 v43, v41
	v_fmac_f32_e32 v43, 0xbe11bafb, v34
	v_add_f32_e32 v38, v43, v38
	v_mul_f32_e32 v43, 0x3f7d64f0, v21
	v_add_f32_e32 v42, v47, v42
	v_fma_f32 v47, v35, s8, -v43
	v_fma_f32 v41, v34, s8, -v41
	v_fmac_f32_e32 v43, 0xbe11bafb, v35
	v_mul_f32_e32 v22, 0x3f0a6770, v22
	v_add_f32_e32 v37, v41, v37
	v_add_f32_e32 v41, v43, v45
	v_mov_b32_e32 v43, v22
	v_fmac_f32_e32 v43, 0x3f575c64, v34
	v_mul_f32_e32 v21, 0x3f0a6770, v21
	v_add_f32_e32 v39, v43, v39
	v_fma_f32 v43, v35, s6, -v21
	v_fmac_f32_e32 v21, 0x3f575c64, v35
	v_fma_f32 v22, v34, s6, -v22
	v_add_f32_e32 v11, v21, v11
	v_mul_f32_e32 v21, 0xbf7d64f0, v18
	v_add_f32_e32 v9, v22, v9
	v_mov_b32_e32 v22, v21
	v_fmac_f32_e32 v22, 0xbe11bafb, v23
	v_add_f32_e32 v22, v22, v25
	v_mul_f32_e32 v25, 0xbf7d64f0, v17
	v_fma_f32 v34, v24, s8, -v25
	v_fma_f32 v21, v23, s8, -v21
	v_fmac_f32_e32 v25, 0xbe11bafb, v24
	v_add_f32_e32 v12, v21, v12
	v_add_f32_e32 v21, v25, v26
	v_mul_f32_e32 v25, 0x3e903f40, v18
	v_mov_b32_e32 v26, v25
	v_fmac_f32_e32 v26, 0xbf75a155, v23
	v_add_f32_e32 v15, v26, v15
	v_mul_f32_e32 v26, 0x3e903f40, v17
	v_add_f32_e32 v32, v34, v32
	v_fma_f32 v34, v24, s14, -v26
	v_fma_f32 v25, v23, s14, -v25
	v_fmac_f32_e32 v26, 0xbf75a155, v24
	v_add_f32_e32 v16, v25, v16
	v_add_f32_e32 v25, v26, v27
	v_mul_f32_e32 v26, 0x3f68dda4, v18
	v_mov_b32_e32 v27, v26
	v_fmac_f32_e32 v27, 0x3ed4b147, v23
	v_mul_f32_e32 v35, 0x3f68dda4, v17
	v_add_f32_e32 v27, v27, v36
	v_fma_f32 v36, v24, s7, -v35
	v_fma_f32 v26, v23, s7, -v26
	v_fmac_f32_e32 v35, 0x3ed4b147, v24
	v_add_f32_e32 v26, v26, v28
	v_add_f32_e32 v28, v35, v33
	v_mul_f32_e32 v33, 0xbf0a6770, v18
	v_mov_b32_e32 v35, v33
	v_fmac_f32_e32 v35, 0x3f575c64, v23
	v_add_f32_e32 v35, v35, v38
	v_mul_f32_e32 v38, 0xbf0a6770, v17
	v_add_f32_e32 v34, v34, v40
	v_fma_f32 v40, v24, s6, -v38
	v_fma_f32 v33, v23, s6, -v33
	v_fmac_f32_e32 v38, 0x3f575c64, v24
	v_mul_f32_e32 v18, 0xbf4178ce, v18
	v_add_f32_e32 v33, v33, v37
	v_add_f32_e32 v37, v38, v41
	v_mov_b32_e32 v38, v18
	v_fmac_f32_e32 v38, 0xbf27a4f4, v23
	v_mul_f32_e32 v17, 0xbf4178ce, v17
	v_fma_f32 v18, v23, s9, -v18
	v_add_f32_e32 v38, v38, v39
	v_fma_f32 v39, v24, s9, -v17
	v_add_f32_e32 v18, v18, v9
	v_fmac_f32_e32 v17, 0xbf27a4f4, v24
	v_mul_f32_e32 v9, 0xbf4178ce, v14
	v_add_f32_e32 v11, v17, v11
	v_mov_b32_e32 v17, v9
	v_fmac_f32_e32 v17, 0xbf27a4f4, v19
	v_add_f32_e32 v17, v17, v22
	v_mul_f32_e32 v22, 0xbf4178ce, v13
	v_fma_f32 v9, v19, s9, -v9
	v_fma_f32 v23, v20, s9, -v22
	v_add_f32_e32 v12, v9, v12
	v_fmac_f32_e32 v22, 0xbf27a4f4, v20
	v_mul_f32_e32 v9, 0x3f7d64f0, v14
	v_add_f32_e32 v21, v22, v21
	v_mov_b32_e32 v22, v9
	v_fmac_f32_e32 v22, 0xbe11bafb, v19
	v_add_f32_e32 v15, v22, v15
	v_mul_f32_e32 v22, 0x3f7d64f0, v13
	v_fma_f32 v9, v19, s8, -v9
	;; [unrolled: 10-line block ×3, first 2 shown]
	v_add_f32_e32 v23, v23, v32
	v_fma_f32 v32, v20, s6, -v27
	v_add_f32_e32 v26, v9, v26
	v_fmac_f32_e32 v27, 0x3f575c64, v20
	v_mul_f32_e32 v9, 0xbe903f40, v14
	v_add_f32_e32 v27, v27, v28
	v_mov_b32_e32 v28, v9
	v_fma_f32 v9, v19, s14, -v9
	v_mul_f32_e32 v14, 0x3f68dda4, v14
	v_add_f32_e32 v33, v9, v33
	v_mov_b32_e32 v9, v14
	v_add_f32_e32 v36, v36, v42
	v_add_f32_e32 v24, v24, v34
	v_mul_f32_e32 v34, 0xbe903f40, v13
	v_fmac_f32_e32 v9, 0x3ed4b147, v19
	v_mul_f32_e32 v13, 0x3f68dda4, v13
	v_fma_f32 v14, v19, s7, -v14
	v_add_f32_e32 v32, v32, v36
	v_add_f32_e32 v36, v9, v38
	v_fma_f32 v9, v20, s7, -v13
	v_add_f32_e32 v14, v14, v18
	v_fmac_f32_e32 v13, 0x3ed4b147, v20
	v_add_f32_e32 v18, v6, v8
	v_sub_f32_e32 v6, v6, v8
	v_add_f32_e32 v11, v13, v11
	v_add_f32_e32 v13, v5, v7
	v_sub_f32_e32 v5, v5, v7
	v_mul_f32_e32 v7, 0xbe903f40, v6
	v_mov_b32_e32 v8, v7
	v_fmac_f32_e32 v8, 0xbf75a155, v13
	v_add_f32_e32 v8, v8, v17
	v_mul_f32_e32 v17, 0xbe903f40, v5
	v_fmac_f32_e32 v28, 0xbf75a155, v19
	v_fma_f32 v19, v18, s14, -v17
	v_fma_f32 v7, v13, s14, -v7
	v_fmac_f32_e32 v17, 0xbf75a155, v18
	v_add_f32_e32 v7, v7, v12
	v_add_f32_e32 v12, v17, v21
	v_mul_f32_e32 v17, 0x3f0a6770, v6
	v_add_f32_e32 v28, v28, v35
	v_fma_f32 v35, v20, s14, -v34
	v_fmac_f32_e32 v34, 0xbf75a155, v20
	v_add_f32_e32 v20, v19, v23
	v_mov_b32_e32 v19, v17
	v_fmac_f32_e32 v19, 0x3f575c64, v13
	v_add_f32_e32 v43, v43, v46
	v_add_f32_e32 v15, v19, v15
	v_mul_f32_e32 v19, 0x3f0a6770, v5
	v_fma_f32 v17, v13, s6, -v17
	v_add_f32_e32 v39, v39, v43
	v_fma_f32 v21, v18, s6, -v19
	v_add_f32_e32 v16, v17, v16
	v_fmac_f32_e32 v19, 0x3f575c64, v18
	v_mul_f32_e32 v17, 0xbf4178ce, v6
	v_mul_f32_e32 v23, 0xbf4178ce, v5
	v_add_f32_e32 v34, v34, v37
	v_add_f32_e32 v37, v9, v39
	v_and_b32_e32 v9, 1, v31
	v_add_f32_e32 v21, v21, v24
	v_add_f32_e32 v22, v19, v22
	v_mov_b32_e32 v19, v17
	v_fma_f32 v24, v18, s9, -v23
	v_fmac_f32_e32 v23, 0xbf27a4f4, v18
	v_mov_b32_e32 v31, 0x14cc
	v_cmp_eq_u32_e64 s[0:1], 1, v9
	v_fmac_f32_e32 v19, 0xbf27a4f4, v13
	v_add_f32_e32 v23, v23, v27
	v_mul_f32_e32 v27, 0x3f68dda4, v5
	v_mul_f32_e32 v5, 0xbf7d64f0, v5
	v_cndmask_b32_e64 v9, 0, v31, s[0:1]
	v_add_f32_e32 v19, v19, v25
	v_add_f32_e32 v24, v24, v32
	v_fma_f32 v17, v13, s9, -v17
	v_mul_f32_e32 v25, 0x3f68dda4, v6
	v_mul_f32_e32 v6, 0xbf7d64f0, v6
	v_fma_f32 v32, v18, s8, -v5
	v_fmac_f32_e32 v5, 0xbe11bafb, v18
	v_add_f32_e32 v17, v17, v26
	v_mov_b32_e32 v26, v25
	v_mov_b32_e32 v31, v6
	v_add_f32_e32 v5, v5, v11
	v_add_u32_e32 v11, 0, v9
	v_add_f32_e32 v44, v47, v44
	v_fmac_f32_e32 v26, 0x3ed4b147, v13
	v_fma_f32 v25, v13, s7, -v25
	v_fmac_f32_e32 v31, 0xbe11bafb, v13
	v_fma_f32 v6, v13, s8, -v6
	v_mad_u32_u24 v13, v30, 44, v11
	s_movk_i32 s0, 0xffd8
	v_add_f32_e32 v40, v40, v44
	v_add_f32_e32 v26, v26, v28
	v_fma_f32 v28, v18, s7, -v27
	v_fmac_f32_e32 v27, 0x3ed4b147, v18
	v_mad_i32_i24 v18, v30, s0, v13
	v_add_f32_e32 v35, v35, v40
	s_load_dwordx2 s[4:5], s[4:5], 0x0
	v_add_f32_e32 v25, v25, v33
	v_add_f32_e32 v31, v31, v36
	v_add_f32_e32 v6, v6, v14
	ds_write2_b32 v13, v0, v8 offset1:1
	ds_write2_b32 v13, v15, v19 offset0:2 offset1:3
	ds_write2_b32 v13, v26, v31 offset0:4 offset1:5
	;; [unrolled: 1-line block ×4, first 2 shown]
	ds_write_b32 v13, v7 offset:40
	v_lshl_add_u32 v17, v30, 2, v11
	v_add_u32_e32 v15, 0x400, v18
	v_add_u32_e32 v0, 0x800, v18
	;; [unrolled: 1-line block ×4, first 2 shown]
	s_movk_i32 s0, 0x75
	v_add_f32_e32 v28, v28, v35
	v_add_f32_e32 v27, v27, v34
	;; [unrolled: 1-line block ×3, first 2 shown]
	s_waitcnt lgkmcnt(0)
	s_barrier
	ds_read_b32 v14, v17
	ds_read2_b32 v[7:8], v18 offset0:121 offset1:242
	ds_read2_b32 v[39:40], v15 offset0:107 offset1:228
	;; [unrolled: 1-line block ×5, first 2 shown]
	s_waitcnt lgkmcnt(0)
	s_barrier
	ds_write2_b32 v13, v10, v20 offset1:1
	ds_write2_b32 v13, v21, v24 offset0:2 offset1:3
	ds_write2_b32 v13, v28, v32 offset0:4 offset1:5
	;; [unrolled: 1-line block ×4, first 2 shown]
	ds_write_b32 v13, v12 offset:40
	v_mul_lo_u16_sdwa v5, v30, s0 dst_sel:DWORD dst_unused:UNUSED_PAD src0_sel:BYTE_0 src1_sel:DWORD
	v_sub_u16_sdwa v6, v30, v5 dst_sel:DWORD dst_unused:UNUSED_PAD src0_sel:DWORD src1_sel:BYTE_1
	v_lshrrev_b16_e32 v6, 1, v6
	v_and_b32_e32 v6, 0x7f, v6
	v_add_u16_sdwa v5, v6, v5 dst_sel:DWORD dst_unused:UNUSED_PAD src0_sel:DWORD src1_sel:BYTE_1
	v_lshrrev_b16_e32 v5, 3, v5
	v_mul_lo_u16_e32 v6, 11, v5
	v_sub_u16_e32 v6, v30, v6
	v_mov_b32_e32 v10, 10
	v_mul_u32_u24_sdwa v10, v6, v10 dst_sel:DWORD dst_unused:UNUSED_PAD src0_sel:BYTE_0 src1_sel:DWORD
	v_lshlrev_b32_e32 v28, 3, v10
	s_waitcnt lgkmcnt(0)
	s_barrier
	global_load_dwordx4 v[10:13], v28, s[12:13]
	global_load_dwordx4 v[20:23], v28, s[12:13] offset:16
	global_load_dwordx4 v[24:27], v28, s[12:13] offset:32
	;; [unrolled: 1-line block ×4, first 2 shown]
	ds_read2_b32 v[47:48], v18 offset0:121 offset1:242
	s_movk_i32 s0, 0x1e4
	v_mad_u32_u24 v5, v5, s0, 0
	s_waitcnt vmcnt(4) lgkmcnt(0)
	v_mul_f32_e32 v28, v47, v11
	v_fmac_f32_e32 v28, v7, v10
	v_mul_f32_e32 v7, v7, v11
	v_fma_f32 v47, v47, v10, -v7
	ds_read2_b32 v[10:11], v15 offset0:107 offset1:228
	v_mul_f32_e32 v49, v48, v13
	v_mul_f32_e32 v7, v8, v13
	v_fmac_f32_e32 v49, v8, v12
	v_fma_f32 v12, v48, v12, -v7
	ds_read2_b32 v[7:8], v0 offset0:93 offset1:214
	s_waitcnt vmcnt(3) lgkmcnt(1)
	v_mul_f32_e32 v13, v10, v21
	v_mul_f32_e32 v48, v11, v23
	;; [unrolled: 1-line block ×4, first 2 shown]
	v_fmac_f32_e32 v13, v39, v20
	v_fma_f32 v20, v10, v20, -v21
	v_fma_f32 v21, v11, v22, -v23
	ds_read2_b32 v[10:11], v16 offset0:79 offset1:200
	v_fmac_f32_e32 v48, v40, v22
	s_waitcnt vmcnt(2) lgkmcnt(1)
	v_mul_f32_e32 v22, v7, v25
	v_mul_f32_e32 v23, v8, v27
	v_mul_f32_e32 v25, v41, v25
	v_mul_f32_e32 v27, v42, v27
	v_fmac_f32_e32 v22, v41, v24
	v_fma_f32 v24, v7, v24, -v25
	v_fma_f32 v25, v8, v26, -v27
	ds_read2_b32 v[7:8], v19 offset0:65 offset1:186
	s_waitcnt vmcnt(1) lgkmcnt(1)
	v_mul_f32_e32 v27, v11, v34
	v_mul_f32_e32 v34, v44, v34
	v_fmac_f32_e32 v23, v42, v26
	v_mul_f32_e32 v26, v10, v32
	v_fmac_f32_e32 v27, v44, v33
	v_mul_f32_e32 v32, v43, v32
	v_fma_f32 v11, v11, v33, -v34
	s_waitcnt vmcnt(0)
	v_mul_f32_e32 v33, v45, v36
	v_fmac_f32_e32 v26, v43, v31
	v_fma_f32 v10, v10, v31, -v32
	s_waitcnt lgkmcnt(0)
	v_mul_f32_e32 v31, v7, v36
	v_fma_f32 v7, v7, v35, -v33
	v_add_f32_e32 v33, v14, v28
	v_add_f32_e32 v33, v33, v49
	;; [unrolled: 1-line block ×3, first 2 shown]
	v_mul_f32_e32 v34, v46, v38
	v_add_f32_e32 v33, v33, v48
	v_mul_f32_e32 v32, v8, v38
	v_fma_f32 v8, v8, v37, -v34
	v_add_f32_e32 v33, v33, v22
	ds_read_b32 v34, v17
	v_add_f32_e32 v33, v33, v23
	v_add_f32_e32 v33, v33, v26
	v_fmac_f32_e32 v31, v45, v35
	v_add_f32_e32 v33, v33, v27
	v_fmac_f32_e32 v32, v46, v37
	v_add_f32_e32 v33, v33, v31
	v_add_f32_e32 v33, v33, v32
	;; [unrolled: 1-line block ×3, first 2 shown]
	v_sub_f32_e32 v28, v28, v32
	s_waitcnt lgkmcnt(0)
	v_add_f32_e32 v32, v34, v47
	v_add_f32_e32 v32, v32, v12
	;; [unrolled: 1-line block ×11, first 2 shown]
	v_sub_f32_e32 v8, v47, v8
	v_mul_f32_e32 v37, 0xbf0a6770, v8
	v_mul_f32_e32 v39, 0xbf68dda4, v8
	;; [unrolled: 1-line block ×5, first 2 shown]
	v_mov_b32_e32 v38, v37
	v_mov_b32_e32 v40, v39
	;; [unrolled: 1-line block ×5, first 2 shown]
	v_fmac_f32_e32 v38, 0x3f575c64, v35
	v_fma_f32 v37, v35, s6, -v37
	v_fmac_f32_e32 v40, 0x3ed4b147, v35
	v_fma_f32 v39, v35, s7, -v39
	;; [unrolled: 2-line block ×5, first 2 shown]
	v_add_f32_e32 v35, v14, v38
	v_add_f32_e32 v37, v14, v37
	;; [unrolled: 1-line block ×10, first 2 shown]
	v_mul_f32_e32 v14, 0x3f575c64, v36
	v_mul_f32_e32 v46, 0x3ed4b147, v36
	;; [unrolled: 1-line block ×5, first 2 shown]
	v_mov_b32_e32 v45, v14
	v_mov_b32_e32 v47, v46
	;; [unrolled: 1-line block ×5, first 2 shown]
	v_fmac_f32_e32 v45, 0x3f0a6770, v28
	v_fmac_f32_e32 v14, 0xbf0a6770, v28
	v_fmac_f32_e32 v47, 0x3f68dda4, v28
	v_fmac_f32_e32 v46, 0xbf68dda4, v28
	v_fmac_f32_e32 v51, 0x3f7d64f0, v28
	v_fmac_f32_e32 v50, 0xbf7d64f0, v28
	v_fmac_f32_e32 v53, 0x3f4178ce, v28
	v_fmac_f32_e32 v52, 0xbf4178ce, v28
	v_fmac_f32_e32 v54, 0x3e903f40, v28
	v_fmac_f32_e32 v36, 0xbe903f40, v28
	v_add_f32_e32 v28, v34, v45
	v_add_f32_e32 v14, v34, v14
	;; [unrolled: 1-line block ×11, first 2 shown]
	v_sub_f32_e32 v31, v49, v31
	v_add_f32_e32 v49, v12, v7
	v_sub_f32_e32 v7, v12, v7
	v_mul_f32_e32 v12, 0xbf68dda4, v7
	v_mov_b32_e32 v54, v12
	v_fmac_f32_e32 v54, 0x3ed4b147, v36
	v_add_f32_e32 v35, v54, v35
	v_mul_f32_e32 v54, 0x3ed4b147, v49
	v_fma_f32 v12, v36, s7, -v12
	v_mov_b32_e32 v55, v54
	v_add_f32_e32 v12, v12, v37
	v_fmac_f32_e32 v54, 0xbf68dda4, v31
	v_mul_f32_e32 v37, 0xbf4178ce, v7
	v_add_f32_e32 v14, v54, v14
	v_mov_b32_e32 v54, v37
	v_fmac_f32_e32 v54, 0xbf27a4f4, v36
	v_fmac_f32_e32 v55, 0x3f68dda4, v31
	v_add_f32_e32 v38, v54, v38
	v_mul_f32_e32 v54, 0xbf27a4f4, v49
	v_add_f32_e32 v28, v55, v28
	v_mov_b32_e32 v55, v54
	v_fma_f32 v37, v36, s9, -v37
	v_fmac_f32_e32 v54, 0xbf4178ce, v31
	v_add_f32_e32 v37, v37, v39
	v_add_f32_e32 v39, v54, v46
	v_mul_f32_e32 v46, 0x3e903f40, v7
	v_mov_b32_e32 v54, v46
	v_fmac_f32_e32 v54, 0xbf75a155, v36
	v_fmac_f32_e32 v55, 0x3f4178ce, v31
	v_add_f32_e32 v40, v54, v40
	v_mul_f32_e32 v54, 0xbf75a155, v49
	v_add_f32_e32 v45, v55, v45
	v_mov_b32_e32 v55, v54
	v_fma_f32 v46, v36, s14, -v46
	v_fmac_f32_e32 v54, 0x3e903f40, v31
	v_add_f32_e32 v41, v46, v41
	v_add_f32_e32 v46, v54, v50
	v_mul_f32_e32 v50, 0x3f7d64f0, v7
	v_mov_b32_e32 v54, v50
	v_fmac_f32_e32 v54, 0xbe11bafb, v36
	v_fmac_f32_e32 v55, 0xbe903f40, v31
	v_add_f32_e32 v42, v54, v42
	v_mul_f32_e32 v54, 0xbe11bafb, v49
	v_add_f32_e32 v47, v55, v47
	v_mov_b32_e32 v55, v54
	v_fma_f32 v50, v36, s8, -v50
	v_fmac_f32_e32 v54, 0x3f7d64f0, v31
	v_mul_f32_e32 v7, 0x3f0a6770, v7
	v_add_f32_e32 v43, v50, v43
	v_add_f32_e32 v50, v54, v52
	v_mov_b32_e32 v52, v7
	v_fmac_f32_e32 v52, 0x3f575c64, v36
	v_mul_f32_e32 v49, 0x3f575c64, v49
	v_add_f32_e32 v44, v52, v44
	v_mov_b32_e32 v52, v49
	v_fmac_f32_e32 v55, 0xbf7d64f0, v31
	v_fmac_f32_e32 v52, 0xbf0a6770, v31
	;; [unrolled: 1-line block ×3, first 2 shown]
	v_add_f32_e32 v31, v13, v27
	v_sub_f32_e32 v13, v13, v27
	v_add_f32_e32 v27, v20, v11
	v_sub_f32_e32 v11, v20, v11
	v_fma_f32 v7, v36, s6, -v7
	v_mul_f32_e32 v20, 0xbf7d64f0, v11
	v_add_f32_e32 v7, v7, v8
	v_add_f32_e32 v8, v49, v34
	v_mov_b32_e32 v34, v20
	v_fmac_f32_e32 v34, 0xbe11bafb, v31
	v_add_f32_e32 v34, v34, v35
	v_mul_f32_e32 v35, 0xbe11bafb, v27
	v_fma_f32 v20, v31, s8, -v20
	v_mov_b32_e32 v36, v35
	v_add_f32_e32 v12, v20, v12
	v_fmac_f32_e32 v35, 0xbf7d64f0, v13
	v_mul_f32_e32 v20, 0x3e903f40, v11
	v_fmac_f32_e32 v36, 0x3f7d64f0, v13
	v_add_f32_e32 v14, v35, v14
	v_mov_b32_e32 v35, v20
	v_add_f32_e32 v28, v36, v28
	v_fmac_f32_e32 v35, 0xbf75a155, v31
	v_mul_f32_e32 v36, 0xbf75a155, v27
	v_fma_f32 v20, v31, s14, -v20
	v_add_f32_e32 v35, v35, v38
	v_mov_b32_e32 v38, v36
	v_add_f32_e32 v20, v20, v37
	v_fmac_f32_e32 v36, 0x3e903f40, v13
	v_mul_f32_e32 v37, 0x3f68dda4, v11
	v_add_f32_e32 v36, v36, v39
	v_mov_b32_e32 v39, v37
	v_fmac_f32_e32 v39, 0x3ed4b147, v31
	v_fmac_f32_e32 v38, 0xbe903f40, v13
	v_add_f32_e32 v39, v39, v40
	v_mul_f32_e32 v40, 0x3ed4b147, v27
	v_fma_f32 v37, v31, s7, -v37
	v_add_f32_e32 v38, v38, v45
	v_mov_b32_e32 v45, v40
	v_add_f32_e32 v37, v37, v41
	v_fmac_f32_e32 v40, 0x3f68dda4, v13
	v_mul_f32_e32 v41, 0xbf0a6770, v11
	v_add_f32_e32 v40, v40, v46
	v_mov_b32_e32 v46, v41
	v_fmac_f32_e32 v46, 0x3f575c64, v31
	v_fmac_f32_e32 v45, 0xbf68dda4, v13
	v_add_f32_e32 v42, v46, v42
	v_mul_f32_e32 v46, 0x3f575c64, v27
	v_add_f32_e32 v45, v45, v47
	v_mov_b32_e32 v47, v46
	v_fma_f32 v41, v31, s6, -v41
	v_fmac_f32_e32 v46, 0xbf0a6770, v13
	v_mul_f32_e32 v11, 0xbf4178ce, v11
	v_add_f32_e32 v41, v41, v43
	v_add_f32_e32 v43, v46, v50
	v_mov_b32_e32 v46, v11
	v_fmac_f32_e32 v46, 0xbf27a4f4, v31
	v_mul_f32_e32 v27, 0xbf27a4f4, v27
	v_add_f32_e32 v44, v46, v44
	v_mov_b32_e32 v46, v27
	v_fma_f32 v11, v31, s9, -v11
	v_fmac_f32_e32 v47, 0x3f0a6770, v13
	v_fmac_f32_e32 v46, 0x3f4178ce, v13
	v_add_f32_e32 v7, v11, v7
	v_fmac_f32_e32 v27, 0xbf4178ce, v13
	v_add_f32_e32 v11, v48, v26
	v_sub_f32_e32 v13, v48, v26
	v_add_f32_e32 v26, v21, v10
	v_sub_f32_e32 v10, v21, v10
	v_mul_f32_e32 v21, 0xbf4178ce, v10
	v_add_f32_e32 v8, v27, v8
	v_mov_b32_e32 v27, v21
	v_fmac_f32_e32 v27, 0xbf27a4f4, v11
	v_mul_f32_e32 v31, 0xbf27a4f4, v26
	v_fma_f32 v21, v11, s9, -v21
	v_add_f32_e32 v27, v27, v34
	v_mov_b32_e32 v34, v31
	v_add_f32_e32 v12, v21, v12
	v_fmac_f32_e32 v31, 0xbf4178ce, v13
	v_mul_f32_e32 v21, 0x3f7d64f0, v10
	v_fmac_f32_e32 v34, 0x3f4178ce, v13
	v_add_f32_e32 v14, v31, v14
	v_mov_b32_e32 v31, v21
	v_add_f32_e32 v28, v34, v28
	v_fmac_f32_e32 v31, 0xbe11bafb, v11
	v_mul_f32_e32 v34, 0xbe11bafb, v26
	v_add_f32_e32 v31, v31, v35
	v_mov_b32_e32 v35, v34
	v_fma_f32 v21, v11, s8, -v21
	v_fmac_f32_e32 v34, 0x3f7d64f0, v13
	v_add_f32_e32 v20, v21, v20
	v_add_f32_e32 v21, v34, v36
	v_mul_f32_e32 v34, 0xbf0a6770, v10
	v_fmac_f32_e32 v35, 0xbf7d64f0, v13
	v_mov_b32_e32 v36, v34
	v_add_f32_e32 v35, v35, v38
	v_fmac_f32_e32 v36, 0x3f575c64, v11
	v_mul_f32_e32 v38, 0x3f575c64, v26
	v_add_f32_e32 v36, v36, v39
	v_mov_b32_e32 v39, v38
	v_fma_f32 v34, v11, s6, -v34
	v_fmac_f32_e32 v38, 0xbf0a6770, v13
	v_add_f32_e32 v34, v34, v37
	v_add_f32_e32 v37, v38, v40
	v_mul_f32_e32 v38, 0xbe903f40, v10
	v_mov_b32_e32 v40, v38
	v_fmac_f32_e32 v40, 0xbf75a155, v11
	v_fmac_f32_e32 v39, 0x3f0a6770, v13
	v_add_f32_e32 v40, v40, v42
	v_mul_f32_e32 v42, 0xbf75a155, v26
	v_add_f32_e32 v39, v39, v45
	v_mov_b32_e32 v45, v42
	v_fma_f32 v38, v11, s14, -v38
	v_fmac_f32_e32 v42, 0xbe903f40, v13
	v_mul_f32_e32 v10, 0x3f68dda4, v10
	v_mul_f32_e32 v26, 0x3ed4b147, v26
	v_add_f32_e32 v38, v38, v41
	v_add_f32_e32 v41, v42, v43
	v_mov_b32_e32 v42, v10
	v_mov_b32_e32 v43, v26
	v_fma_f32 v10, v11, s7, -v10
	v_fmac_f32_e32 v45, 0x3e903f40, v13
	v_fmac_f32_e32 v42, 0x3ed4b147, v11
	;; [unrolled: 1-line block ×3, first 2 shown]
	v_add_f32_e32 v7, v10, v7
	v_fmac_f32_e32 v26, 0x3f68dda4, v13
	v_add_f32_e32 v10, v22, v23
	v_sub_f32_e32 v11, v22, v23
	v_add_f32_e32 v13, v24, v25
	v_sub_f32_e32 v22, v24, v25
	v_mul_f32_e32 v23, 0xbe903f40, v22
	v_mul_f32_e32 v25, 0xbf75a155, v13
	v_add_f32_e32 v8, v26, v8
	v_mov_b32_e32 v24, v23
	v_mov_b32_e32 v26, v25
	v_fma_f32 v23, v10, s14, -v23
	v_fmac_f32_e32 v25, 0xbe903f40, v11
	v_fmac_f32_e32 v24, 0xbf75a155, v10
	v_add_f32_e32 v12, v23, v12
	v_add_f32_e32 v23, v25, v14
	v_mul_f32_e32 v14, 0x3f0a6770, v22
	v_add_f32_e32 v24, v24, v27
	v_fmac_f32_e32 v26, 0x3e903f40, v11
	v_mov_b32_e32 v25, v14
	v_mul_f32_e32 v27, 0x3f575c64, v13
	v_fma_f32 v14, v10, s6, -v14
	v_add_f32_e32 v26, v26, v28
	v_mov_b32_e32 v28, v27
	v_add_f32_e32 v14, v14, v20
	v_fmac_f32_e32 v27, 0x3f0a6770, v11
	v_mul_f32_e32 v20, 0xbf4178ce, v22
	v_fmac_f32_e32 v25, 0x3f575c64, v10
	v_add_f32_e32 v21, v27, v21
	v_mov_b32_e32 v27, v20
	v_fma_f32 v20, v10, s9, -v20
	v_add_f32_e32 v25, v25, v31
	v_fmac_f32_e32 v28, 0xbf0a6770, v11
	v_fmac_f32_e32 v27, 0xbf27a4f4, v10
	v_mul_f32_e32 v31, 0xbf27a4f4, v13
	v_add_f32_e32 v20, v20, v34
	v_mul_f32_e32 v34, 0x3f68dda4, v22
	v_add_f32_e32 v28, v28, v35
	v_add_f32_e32 v27, v27, v36
	v_mov_b32_e32 v35, v31
	v_fmac_f32_e32 v31, 0xbf4178ce, v11
	v_mov_b32_e32 v36, v34
	v_add_f32_e32 v31, v31, v37
	v_fmac_f32_e32 v36, 0x3ed4b147, v10
	v_mul_f32_e32 v37, 0x3ed4b147, v13
	v_fma_f32 v34, v10, s7, -v34
	v_mul_f32_e32 v22, 0xbf7d64f0, v22
	v_mul_f32_e32 v13, 0xbe11bafb, v13
	v_add_f32_e32 v36, v36, v40
	v_add_f32_e32 v34, v34, v38
	v_mov_b32_e32 v38, v22
	v_mov_b32_e32 v40, v13
	v_fmac_f32_e32 v13, 0xbf7d64f0, v11
	v_fmac_f32_e32 v35, 0x3f4178ce, v11
	;; [unrolled: 1-line block ×3, first 2 shown]
	v_fma_f32 v10, v10, s8, -v22
	v_add_f32_e32 v22, v13, v8
	v_mov_b32_e32 v8, 2
	v_add_f32_e32 v35, v35, v39
	v_mov_b32_e32 v39, v37
	v_fmac_f32_e32 v37, 0x3f68dda4, v11
	v_lshlrev_b32_sdwa v6, v8, v6 dst_sel:DWORD dst_unused:UNUSED_PAD src0_sel:DWORD src1_sel:BYTE_0
	v_add_f32_e32 v42, v42, v44
	v_add_f32_e32 v37, v37, v41
	v_add_f32_e32 v7, v10, v7
	v_add3_u32 v41, v5, v6, v9
	v_fmac_f32_e32 v39, 0xbf68dda4, v11
	v_add_f32_e32 v38, v38, v42
	v_fmac_f32_e32 v40, 0x3f7d64f0, v11
	s_barrier
	ds_write2_b32 v41, v33, v24 offset1:11
	ds_write2_b32 v41, v25, v27 offset0:22 offset1:33
	ds_write2_b32 v41, v36, v38 offset0:44 offset1:55
	ds_write2_b32 v41, v7, v34 offset0:66 offset1:77
	ds_write2_b32 v41, v20, v14 offset0:88 offset1:99
	ds_write_b32 v41, v12 offset:440
	s_waitcnt lgkmcnt(0)
	s_barrier
	ds_read_b32 v20, v17
	ds_read2_b32 v[11:12], v18 offset0:121 offset1:242
	ds_read2_b32 v[7:8], v15 offset0:107 offset1:228
	;; [unrolled: 1-line block ×5, first 2 shown]
	v_add_f32_e32 v51, v55, v51
	v_add_f32_e32 v52, v52, v53
	v_add_f32_e32 v47, v47, v51
	v_add_f32_e32 v46, v46, v52
	v_add_f32_e32 v45, v45, v47
	v_add_f32_e32 v43, v43, v46
	v_add_f32_e32 v39, v39, v45
	v_add_f32_e32 v40, v40, v43
	s_waitcnt lgkmcnt(0)
	s_barrier
	ds_write2_b32 v41, v32, v26 offset1:11
	ds_write2_b32 v41, v28, v35 offset0:22 offset1:33
	ds_write2_b32 v41, v39, v40 offset0:44 offset1:55
	;; [unrolled: 1-line block ×4, first 2 shown]
	ds_write_b32 v41, v23 offset:440
	s_waitcnt lgkmcnt(0)
	s_barrier
	s_and_saveexec_b64 s[0:1], vcc
	s_cbranch_execz .LBB0_15
; %bb.14:
	v_mul_u32_u24_e32 v21, 10, v30
	v_lshlrev_b32_e32 v42, 3, v21
	global_load_dwordx4 v[21:24], v42, s[12:13] offset:944
	global_load_dwordx4 v[25:28], v42, s[12:13] offset:880
	;; [unrolled: 1-line block ×5, first 2 shown]
	v_mul_lo_u32 v48, s5, v3
	v_mul_lo_u32 v49, s4, v4
	v_mad_u64_u32 v[3:4], s[0:1], s4, v3, 0
	ds_read2_b32 v[42:43], v19 offset0:65 offset1:186
	ds_read2_b32 v[18:19], v18 offset0:121 offset1:242
	ds_read_b32 v50, v17
	ds_read2_b32 v[16:17], v16 offset0:79 offset1:200
	ds_read2_b32 v[44:45], v15 offset0:107 offset1:228
	;; [unrolled: 1-line block ×3, first 2 shown]
	v_add3_u32 v4, v4, v49, v48
	v_lshlrev_b64 v[3:4], 3, v[3:4]
	v_add_co_u32_e32 v3, vcc, s10, v3
	s_waitcnt vmcnt(4)
	v_mul_f32_e32 v0, v14, v24
	s_waitcnt vmcnt(3)
	v_mul_f32_e32 v15, v11, v26
	v_mul_f32_e32 v48, v13, v22
	;; [unrolled: 1-line block ×3, first 2 shown]
	s_waitcnt lgkmcnt(5)
	v_mul_f32_e32 v22, v42, v22
	s_waitcnt lgkmcnt(4)
	v_fma_f32 v15, v18, v25, -v15
	v_fma_f32 v0, v43, v23, -v0
	v_mul_f32_e32 v26, v18, v26
	v_mul_f32_e32 v24, v43, v24
	v_mul_f32_e32 v28, v19, v28
	s_waitcnt vmcnt(2)
	v_mul_f32_e32 v51, v10, v33
	s_waitcnt vmcnt(1)
	v_mul_f32_e32 v52, v7, v35
	;; [unrolled: 2-line block ×3, first 2 shown]
	v_fma_f32 v18, v19, v27, -v49
	v_fma_f32 v19, v42, v21, -v48
	v_fmac_f32_e32 v22, v13, v21
	v_add_f32_e32 v13, v0, v15
	s_waitcnt lgkmcnt(1)
	v_mul_f32_e32 v35, v44, v35
	v_mul_f32_e32 v33, v17, v33
	v_mul_f32_e32 v53, v9, v31
	v_mul_f32_e32 v54, v8, v37
	v_mul_f32_e32 v31, v16, v31
	v_mul_f32_e32 v55, v6, v41
	s_waitcnt lgkmcnt(0)
	v_mul_f32_e32 v39, v46, v39
	v_fmac_f32_e32 v26, v11, v25
	v_fmac_f32_e32 v28, v12, v27
	;; [unrolled: 1-line block ×3, first 2 shown]
	v_fma_f32 v17, v17, v32, -v51
	v_fma_f32 v21, v44, v34, -v52
	v_fma_f32 v27, v46, v38, -v56
	v_add_f32_e32 v14, v19, v18
	v_mul_f32_e32 v46, 0xbf75a155, v13
	v_mul_f32_e32 v41, v47, v41
	v_fmac_f32_e32 v35, v7, v34
	v_fma_f32 v16, v16, v30, -v53
	v_fma_f32 v23, v45, v36, -v54
	v_fmac_f32_e32 v31, v9, v30
	v_fma_f32 v25, v47, v40, -v55
	v_fmac_f32_e32 v39, v5, v38
	v_sub_f32_e32 v30, v26, v24
	v_add_f32_e32 v34, v17, v21
	v_mul_f32_e32 v47, 0x3f575c64, v14
	v_mov_b32_e32 v5, v46
	v_mul_f32_e32 v37, v45, v37
	v_fmac_f32_e32 v33, v10, v32
	v_fmac_f32_e32 v41, v6, v40
	v_sub_f32_e32 v32, v28, v22
	v_add_f32_e32 v38, v16, v23
	v_mul_f32_e32 v48, 0xbf27a4f4, v34
	v_mov_b32_e32 v6, v47
	v_fmac_f32_e32 v5, 0x3e903f40, v30
	v_fmac_f32_e32 v37, v8, v36
	v_sub_f32_e32 v36, v35, v33
	v_add_f32_e32 v42, v25, v27
	v_sub_f32_e32 v45, v15, v0
	v_mul_f32_e32 v49, 0x3ed4b147, v38
	v_mov_b32_e32 v7, v48
	v_fmac_f32_e32 v6, 0xbf0a6770, v32
	v_add_f32_e32 v5, v50, v5
	v_sub_f32_e32 v40, v37, v31
	v_mul_f32_e32 v51, 0xbe11bafb, v42
	v_mul_f32_e32 v52, 0xbe903f40, v45
	v_mov_b32_e32 v8, v49
	v_fmac_f32_e32 v7, 0x3f4178ce, v36
	v_add_f32_e32 v5, v5, v6
	v_sub_f32_e32 v54, v18, v19
	v_sub_f32_e32 v43, v39, v41
	v_add_f32_e32 v44, v24, v26
	v_mov_b32_e32 v9, v51
	v_mov_b32_e32 v10, v52
	v_fmac_f32_e32 v8, 0xbf68dda4, v40
	v_add_f32_e32 v5, v5, v7
	v_mul_f32_e32 v55, 0x3f0a6770, v54
	v_fmac_f32_e32 v9, 0x3f7d64f0, v43
	v_fmac_f32_e32 v10, 0xbf75a155, v44
	v_add_f32_e32 v5, v5, v8
	v_add_f32_e32 v53, v22, v28
	v_mov_b32_e32 v7, v55
	v_sub_f32_e32 v57, v21, v17
	v_add_f32_e32 v6, v5, v9
	v_add_f32_e32 v5, v20, v10
	v_fmac_f32_e32 v7, 0x3f575c64, v53
	v_mul_f32_e32 v58, 0xbf4178ce, v57
	v_add_f32_e32 v5, v5, v7
	v_add_f32_e32 v56, v33, v35
	v_mov_b32_e32 v7, v58
	v_sub_f32_e32 v60, v23, v16
	v_fmac_f32_e32 v7, 0xbf27a4f4, v56
	v_mul_f32_e32 v61, 0x3f68dda4, v60
	v_add_f32_e32 v5, v5, v7
	v_add_f32_e32 v59, v31, v37
	v_mov_b32_e32 v7, v61
	v_sub_f32_e32 v63, v27, v25
	v_fmac_f32_e32 v7, 0x3ed4b147, v59
	v_mul_f32_e32 v64, 0xbf7d64f0, v63
	v_add_f32_e32 v5, v5, v7
	v_add_f32_e32 v62, v41, v39
	v_mov_b32_e32 v7, v64
	v_fmac_f32_e32 v7, 0xbe11bafb, v62
	v_mul_f32_e32 v65, 0xbf27a4f4, v13
	v_add_f32_e32 v5, v5, v7
	v_mov_b32_e32 v7, v65
	v_mul_f32_e32 v66, 0xbe11bafb, v14
	v_fmac_f32_e32 v7, 0x3f4178ce, v30
	v_mov_b32_e32 v8, v66
	v_add_f32_e32 v7, v50, v7
	v_fmac_f32_e32 v8, 0xbf7d64f0, v32
	v_mul_f32_e32 v67, 0x3f575c64, v34
	v_add_f32_e32 v7, v7, v8
	v_mov_b32_e32 v8, v67
	v_fmac_f32_e32 v8, 0x3f0a6770, v36
	v_mul_f32_e32 v68, 0xbf75a155, v38
	v_add_f32_e32 v7, v7, v8
	v_mov_b32_e32 v8, v68
	;; [unrolled: 4-line block ×3, first 2 shown]
	v_mul_f32_e32 v70, 0x3f7d64f0, v54
	v_fmac_f32_e32 v8, 0xbf27a4f4, v44
	v_mov_b32_e32 v9, v70
	v_add_f32_e32 v8, v20, v8
	v_fmac_f32_e32 v9, 0xbe11bafb, v53
	v_mul_f32_e32 v71, 0xbf0a6770, v57
	v_add_f32_e32 v8, v8, v9
	v_mov_b32_e32 v9, v71
	v_fmac_f32_e32 v9, 0x3f575c64, v56
	v_mul_f32_e32 v72, 0xbe903f40, v60
	v_add_f32_e32 v8, v8, v9
	v_mov_b32_e32 v9, v72
	;; [unrolled: 4-line block ×5, first 2 shown]
	v_mul_f32_e32 v76, 0xbf75a155, v14
	v_fmac_f32_e32 v9, 0x3f7d64f0, v30
	v_mov_b32_e32 v10, v76
	v_add_f32_e32 v9, v50, v9
	v_fmac_f32_e32 v10, 0xbe903f40, v32
	v_mul_f32_e32 v77, 0x3ed4b147, v34
	v_add_f32_e32 v9, v9, v10
	v_mov_b32_e32 v10, v77
	v_fmac_f32_e32 v10, 0xbf68dda4, v36
	v_mul_f32_e32 v78, 0x3f575c64, v38
	v_add_f32_e32 v9, v9, v10
	v_mov_b32_e32 v10, v78
	;; [unrolled: 4-line block ×3, first 2 shown]
	v_mul_f32_e32 v80, 0x3e903f40, v54
	v_add_f32_e32 v15, v50, v15
	v_fmac_f32_e32 v10, 0xbe11bafb, v44
	v_mov_b32_e32 v11, v80
	v_add_f32_e32 v15, v15, v18
	v_add_f32_e32 v10, v20, v10
	v_fmac_f32_e32 v11, 0xbf75a155, v53
	v_mul_f32_e32 v81, 0x3f68dda4, v57
	v_add_f32_e32 v15, v15, v21
	v_add_f32_e32 v10, v10, v11
	v_mov_b32_e32 v11, v81
	v_add_f32_e32 v15, v15, v23
	v_fmac_f32_e32 v11, 0x3ed4b147, v56
	v_mul_f32_e32 v82, 0xbf0a6770, v60
	v_add_f32_e32 v15, v15, v27
	v_add_f32_e32 v10, v10, v11
	v_mov_b32_e32 v11, v82
	v_add_f32_e32 v15, v25, v15
	v_fmac_f32_e32 v11, 0x3f575c64, v59
	v_mul_f32_e32 v83, 0xbf27a4f4, v42
	v_add_f32_e32 v15, v16, v15
	v_add_f32_e32 v16, v20, v26
	v_add_f32_e32 v11, v10, v11
	v_mov_b32_e32 v10, v83
	v_add_f32_e32 v16, v16, v28
	v_fmac_f32_e32 v10, 0x3f4178ce, v43
	v_mul_f32_e32 v84, 0xbf4178ce, v63
	v_add_f32_e32 v16, v16, v35
	v_add_f32_e32 v10, v9, v10
	v_mov_b32_e32 v9, v84
	v_add_f32_e32 v16, v16, v37
	v_fmac_f32_e32 v9, 0xbf27a4f4, v62
	v_mul_f32_e32 v85, 0x3ed4b147, v13
	v_add_f32_e32 v16, v16, v39
	v_add_f32_e32 v9, v11, v9
	v_mov_b32_e32 v11, v85
	v_mul_f32_e32 v86, 0xbf27a4f4, v14
	v_add_f32_e32 v16, v41, v16
	v_fmac_f32_e32 v11, 0x3f68dda4, v30
	v_mov_b32_e32 v12, v86
	v_add_f32_e32 v16, v31, v16
	v_add_f32_e32 v11, v50, v11
	v_fmac_f32_e32 v12, 0x3f4178ce, v32
	v_mul_f32_e32 v87, 0xbf75a155, v34
	v_add_f32_e32 v15, v17, v15
	v_add_f32_e32 v16, v33, v16
	;; [unrolled: 1-line block ×3, first 2 shown]
	v_mov_b32_e32 v12, v87
	v_add_f32_e32 v15, v19, v15
	v_add_f32_e32 v17, v22, v16
	v_fmac_f32_e32 v46, 0xbe903f40, v30
	v_fmac_f32_e32 v12, 0xbe903f40, v36
	v_mul_f32_e32 v88, 0xbe11bafb, v38
	v_add_f32_e32 v16, v0, v15
	v_add_f32_e32 v15, v24, v17
	;; [unrolled: 1-line block ×3, first 2 shown]
	v_fmac_f32_e32 v47, 0x3f0a6770, v32
	v_fma_f32 v17, v44, s14, -v52
	v_add_f32_e32 v11, v11, v12
	v_mov_b32_e32 v12, v88
	v_add_f32_e32 v0, v0, v47
	v_fmac_f32_e32 v48, 0xbf4178ce, v36
	v_add_f32_e32 v17, v20, v17
	v_fma_f32 v18, v53, s6, -v55
	v_fmac_f32_e32 v12, 0xbf7d64f0, v40
	v_mul_f32_e32 v89, 0xbf68dda4, v45
	v_add_f32_e32 v0, v0, v48
	v_fmac_f32_e32 v49, 0x3f68dda4, v40
	v_add_f32_e32 v17, v17, v18
	v_fma_f32 v18, v56, s9, -v58
	v_add_f32_e32 v11, v11, v12
	v_mov_b32_e32 v12, v89
	v_mul_f32_e32 v90, 0xbf4178ce, v54
	v_add_f32_e32 v0, v0, v49
	v_add_f32_e32 v17, v17, v18
	v_fma_f32 v18, v59, s7, -v61
	v_fmac_f32_e32 v51, 0xbf7d64f0, v43
	v_fmac_f32_e32 v12, 0x3ed4b147, v44
	v_mov_b32_e32 v91, v90
	v_add_f32_e32 v17, v17, v18
	v_add_f32_e32 v18, v0, v51
	v_fma_f32 v0, v62, s8, -v64
	v_fmac_f32_e32 v65, 0xbf4178ce, v30
	v_add_f32_e32 v12, v20, v12
	v_fmac_f32_e32 v91, 0xbf27a4f4, v53
	v_add_f32_e32 v17, v17, v0
	v_add_f32_e32 v0, v50, v65
	v_fmac_f32_e32 v66, 0x3f7d64f0, v32
	v_fma_f32 v19, v44, s9, -v69
	v_add_f32_e32 v12, v12, v91
	v_mul_f32_e32 v91, 0x3e903f40, v57
	v_add_f32_e32 v0, v0, v66
	v_fmac_f32_e32 v67, 0xbf0a6770, v36
	v_add_f32_e32 v19, v20, v19
	v_fma_f32 v21, v53, s8, -v70
	v_mov_b32_e32 v92, v91
	v_add_f32_e32 v0, v0, v67
	v_fmac_f32_e32 v68, 0xbe903f40, v40
	v_add_f32_e32 v19, v19, v21
	v_fma_f32 v21, v56, s6, -v71
	v_fmac_f32_e32 v92, 0xbf75a155, v56
	v_add_f32_e32 v0, v0, v68
	v_add_f32_e32 v19, v19, v21
	v_fma_f32 v21, v59, s14, -v72
	v_fmac_f32_e32 v73, 0x3f68dda4, v43
	v_add_f32_e32 v12, v12, v92
	v_mul_f32_e32 v92, 0x3f7d64f0, v60
	v_add_f32_e32 v19, v19, v21
	v_add_f32_e32 v22, v0, v73
	v_fma_f32 v0, v62, s7, -v74
	v_fmac_f32_e32 v75, 0xbf7d64f0, v30
	v_mov_b32_e32 v93, v92
	v_add_f32_e32 v21, v19, v0
	v_add_f32_e32 v0, v50, v75
	v_fmac_f32_e32 v76, 0x3e903f40, v32
	v_fmac_f32_e32 v93, 0xbe11bafb, v59
	v_mul_f32_e32 v94, 0x3f575c64, v42
	v_add_f32_e32 v0, v0, v76
	v_fmac_f32_e32 v77, 0x3f68dda4, v36
	v_add_f32_e32 v93, v12, v93
	v_mov_b32_e32 v12, v94
	v_add_f32_e32 v0, v0, v77
	v_fmac_f32_e32 v78, 0xbf0a6770, v40
	v_fmac_f32_e32 v12, 0xbf0a6770, v43
	v_mul_f32_e32 v95, 0x3f0a6770, v63
	v_add_f32_e32 v0, v0, v78
	v_fmac_f32_e32 v83, 0xbf4178ce, v43
	v_add_f32_e32 v12, v11, v12
	v_mov_b32_e32 v11, v95
	v_add_f32_e32 v24, v0, v83
	v_fma_f32 v0, v44, s8, -v79
	v_fmac_f32_e32 v11, 0x3f575c64, v62
	v_add_f32_e32 v0, v20, v0
	v_fma_f32 v19, v53, s14, -v80
	v_add_f32_e32 v11, v93, v11
	v_mul_f32_e32 v93, 0x3f575c64, v13
	v_add_f32_e32 v0, v0, v19
	v_fma_f32 v19, v56, s7, -v81
	v_mov_b32_e32 v13, v93
	v_mul_f32_e32 v96, 0x3ed4b147, v14
	v_add_f32_e32 v0, v0, v19
	v_fma_f32 v19, v59, s6, -v82
	v_fmac_f32_e32 v13, 0x3f0a6770, v30
	v_mov_b32_e32 v14, v96
	v_add_f32_e32 v0, v0, v19
	v_fma_f32 v19, v62, s9, -v84
	v_fmac_f32_e32 v85, 0xbf68dda4, v30
	v_add_f32_e32 v13, v50, v13
	v_fmac_f32_e32 v14, 0x3f68dda4, v32
	v_mul_f32_e32 v34, 0xbe11bafb, v34
	v_add_f32_e32 v23, v0, v19
	v_add_f32_e32 v0, v50, v85
	v_fmac_f32_e32 v86, 0xbf4178ce, v32
	v_add_f32_e32 v13, v13, v14
	v_mov_b32_e32 v14, v34
	v_add_f32_e32 v0, v0, v86
	v_fmac_f32_e32 v87, 0x3e903f40, v36
	v_fmac_f32_e32 v14, 0x3f7d64f0, v36
	v_mul_f32_e32 v38, 0xbf27a4f4, v38
	v_add_f32_e32 v0, v0, v87
	v_fmac_f32_e32 v88, 0x3f7d64f0, v40
	v_add_f32_e32 v13, v13, v14
	v_mov_b32_e32 v14, v38
	v_add_f32_e32 v0, v0, v88
	v_fmac_f32_e32 v94, 0x3f0a6770, v43
	v_fmac_f32_e32 v14, 0x3f4178ce, v40
	v_mul_f32_e32 v45, 0xbf0a6770, v45
	v_add_f32_e32 v26, v0, v94
	v_fma_f32 v0, v44, s7, -v89
	v_add_f32_e32 v13, v13, v14
	v_mov_b32_e32 v14, v45
	v_mul_f32_e32 v54, 0xbf68dda4, v54
	v_add_f32_e32 v0, v20, v0
	v_fma_f32 v19, v53, s9, -v90
	v_fmac_f32_e32 v14, 0x3f575c64, v44
	v_mov_b32_e32 v97, v54
	v_add_f32_e32 v0, v0, v19
	v_fma_f32 v19, v56, s14, -v91
	v_add_f32_e32 v14, v20, v14
	v_fmac_f32_e32 v97, 0x3ed4b147, v53
	v_mul_f32_e32 v57, 0xbf7d64f0, v57
	v_add_f32_e32 v0, v0, v19
	v_fma_f32 v19, v59, s8, -v92
	v_add_f32_e32 v14, v14, v97
	v_mov_b32_e32 v97, v57
	v_add_f32_e32 v0, v0, v19
	v_fma_f32 v19, v62, s6, -v95
	v_fmac_f32_e32 v93, 0xbf0a6770, v30
	v_fmac_f32_e32 v97, 0xbe11bafb, v56
	v_mul_f32_e32 v60, 0xbf4178ce, v60
	v_add_f32_e32 v25, v0, v19
	v_add_f32_e32 v0, v50, v93
	v_fmac_f32_e32 v96, 0xbf68dda4, v32
	v_add_f32_e32 v14, v14, v97
	v_mov_b32_e32 v97, v60
	v_add_f32_e32 v0, v0, v96
	v_fmac_f32_e32 v34, 0xbf7d64f0, v36
	v_fmac_f32_e32 v97, 0xbf27a4f4, v59
	v_mul_f32_e32 v42, 0xbf75a155, v42
	v_add_f32_e32 v0, v0, v34
	v_fmac_f32_e32 v38, 0xbf4178ce, v40
	v_add_f32_e32 v97, v14, v97
	v_mov_b32_e32 v14, v42
	v_add_f32_e32 v0, v0, v38
	v_fmac_f32_e32 v42, 0xbe903f40, v43
	v_add_f32_e32 v28, v0, v42
	v_fma_f32 v0, v44, s6, -v45
	v_add_f32_e32 v0, v20, v0
	v_fma_f32 v19, v53, s7, -v54
	v_add_f32_e32 v0, v0, v19
	v_mad_u64_u32 v[19:20], s[0:1], s2, v29, 0
	v_fma_f32 v27, v56, s8, -v57
	v_mul_f32_e32 v63, 0xbe903f40, v63
	v_add_f32_e32 v27, v0, v27
	v_fma_f32 v32, v59, s9, -v60
	v_mov_b32_e32 v0, v20
	v_mad_u64_u32 v[30:31], s[0:1], s3, v29, v[0:1]
	v_add_f32_e32 v0, v27, v32
	v_fma_f32 v20, v62, s14, -v63
	v_add_f32_e32 v27, v0, v20
	v_mov_b32_e32 v0, s11
	v_addc_co_u32_e32 v4, vcc, v0, v4, vcc
	v_lshlrev_b64 v[0:1], 3, v[1:2]
	v_mov_b32_e32 v20, v30
	v_add_co_u32_e32 v30, vcc, v3, v0
	v_addc_co_u32_e32 v31, vcc, v4, v1, vcc
	v_add_u32_e32 v4, 0x79, v29
	v_mad_u64_u32 v[2:3], s[0:1], s2, v4, 0
	v_lshlrev_b64 v[0:1], 3, v[19:20]
	v_fmac_f32_e32 v14, 0x3e903f40, v43
	v_mad_u64_u32 v[3:4], s[0:1], s3, v4, v[3:4]
	v_add_u32_e32 v4, 0xf2, v29
	v_mad_u64_u32 v[19:20], s[0:1], s2, v4, 0
	v_add_co_u32_e32 v0, vcc, v30, v0
	v_addc_co_u32_e32 v1, vcc, v31, v1, vcc
	global_store_dwordx2 v[0:1], v[15:16], off
	v_lshlrev_b64 v[0:1], 3, v[2:3]
	v_mov_b32_e32 v2, v20
	v_mad_u64_u32 v[2:3], s[0:1], s3, v4, v[2:3]
	v_add_u32_e32 v4, 0x16b, v29
	v_add_f32_e32 v14, v13, v14
	v_mov_b32_e32 v20, v2
	v_mad_u64_u32 v[2:3], s[0:1], s2, v4, 0
	v_mov_b32_e32 v13, v63
	v_fmac_f32_e32 v13, 0xbf75a155, v62
	v_add_co_u32_e32 v0, vcc, v30, v0
	v_mad_u64_u32 v[3:4], s[0:1], s3, v4, v[3:4]
	v_add_f32_e32 v13, v97, v13
	v_addc_co_u32_e32 v1, vcc, v31, v1, vcc
	v_add_u32_e32 v4, 0x1e4, v29
	global_store_dwordx2 v[0:1], v[13:14], off
	v_lshlrev_b64 v[0:1], 3, v[19:20]
	v_mad_u64_u32 v[13:14], s[0:1], s2, v4, 0
	v_add_co_u32_e32 v0, vcc, v30, v0
	v_addc_co_u32_e32 v1, vcc, v31, v1, vcc
	global_store_dwordx2 v[0:1], v[11:12], off
	v_lshlrev_b64 v[0:1], 3, v[2:3]
	v_mov_b32_e32 v2, v14
	v_mad_u64_u32 v[2:3], s[0:1], s3, v4, v[2:3]
	v_add_u32_e32 v4, 0x25d, v29
	v_add_co_u32_e32 v0, vcc, v30, v0
	v_mov_b32_e32 v14, v2
	v_mad_u64_u32 v[2:3], s[0:1], s2, v4, 0
	v_addc_co_u32_e32 v1, vcc, v31, v1, vcc
	v_mad_u64_u32 v[3:4], s[0:1], s3, v4, v[3:4]
	v_add_u32_e32 v4, 0x2d6, v29
	global_store_dwordx2 v[0:1], v[9:10], off
	v_lshlrev_b64 v[0:1], 3, v[13:14]
	v_mad_u64_u32 v[9:10], s[0:1], s2, v4, 0
	v_add_co_u32_e32 v0, vcc, v30, v0
	v_addc_co_u32_e32 v1, vcc, v31, v1, vcc
	global_store_dwordx2 v[0:1], v[7:8], off
	v_lshlrev_b64 v[0:1], 3, v[2:3]
	v_mov_b32_e32 v2, v10
	v_mad_u64_u32 v[2:3], s[0:1], s3, v4, v[2:3]
	v_add_u32_e32 v4, 0x34f, v29
	v_add_co_u32_e32 v0, vcc, v30, v0
	v_mov_b32_e32 v10, v2
	v_mad_u64_u32 v[2:3], s[0:1], s2, v4, 0
	v_addc_co_u32_e32 v1, vcc, v31, v1, vcc
	global_store_dwordx2 v[0:1], v[5:6], off
	v_mad_u64_u32 v[3:4], s[0:1], s3, v4, v[3:4]
	v_add_u32_e32 v6, 0x3c8, v29
	v_lshlrev_b64 v[0:1], 3, v[9:10]
	v_mad_u64_u32 v[4:5], s[0:1], s2, v6, 0
	v_add_co_u32_e32 v0, vcc, v30, v0
	v_addc_co_u32_e32 v1, vcc, v31, v1, vcc
	global_store_dwordx2 v[0:1], v[17:18], off
	v_lshlrev_b64 v[0:1], 3, v[2:3]
	v_mov_b32_e32 v2, v5
	v_mad_u64_u32 v[2:3], s[0:1], s3, v6, v[2:3]
	v_add_co_u32_e32 v0, vcc, v30, v0
	v_addc_co_u32_e32 v1, vcc, v31, v1, vcc
	v_mov_b32_e32 v5, v2
	global_store_dwordx2 v[0:1], v[21:22], off
	v_lshlrev_b64 v[0:1], 3, v[4:5]
	v_add_u32_e32 v4, 0x441, v29
	v_mad_u64_u32 v[2:3], s[0:1], s2, v4, 0
	v_add_u32_e32 v6, 0x4ba, v29
	v_add_co_u32_e32 v0, vcc, v30, v0
	v_mad_u64_u32 v[3:4], s[0:1], s3, v4, v[3:4]
	v_mad_u64_u32 v[4:5], s[0:1], s2, v6, 0
	v_addc_co_u32_e32 v1, vcc, v31, v1, vcc
	global_store_dwordx2 v[0:1], v[23:24], off
	v_lshlrev_b64 v[0:1], 3, v[2:3]
	v_mov_b32_e32 v2, v5
	v_mad_u64_u32 v[2:3], s[0:1], s3, v6, v[2:3]
	v_add_co_u32_e32 v0, vcc, v30, v0
	v_addc_co_u32_e32 v1, vcc, v31, v1, vcc
	v_mov_b32_e32 v5, v2
	global_store_dwordx2 v[0:1], v[25:26], off
	v_lshlrev_b64 v[0:1], 3, v[4:5]
	v_add_co_u32_e32 v0, vcc, v30, v0
	v_addc_co_u32_e32 v1, vcc, v31, v1, vcc
	global_store_dwordx2 v[0:1], v[27:28], off
.LBB0_15:
	s_endpgm
	.section	.rodata,"a",@progbits
	.p2align	6, 0x0
	.amdhsa_kernel fft_rtc_back_len1331_factors_11_11_11_wgs_242_tpt_121_halfLds_sp_op_CI_CI_sbrr_dirReg
		.amdhsa_group_segment_fixed_size 0
		.amdhsa_private_segment_fixed_size 0
		.amdhsa_kernarg_size 104
		.amdhsa_user_sgpr_count 6
		.amdhsa_user_sgpr_private_segment_buffer 1
		.amdhsa_user_sgpr_dispatch_ptr 0
		.amdhsa_user_sgpr_queue_ptr 0
		.amdhsa_user_sgpr_kernarg_segment_ptr 1
		.amdhsa_user_sgpr_dispatch_id 0
		.amdhsa_user_sgpr_flat_scratch_init 0
		.amdhsa_user_sgpr_private_segment_size 0
		.amdhsa_uses_dynamic_stack 0
		.amdhsa_system_sgpr_private_segment_wavefront_offset 0
		.amdhsa_system_sgpr_workgroup_id_x 1
		.amdhsa_system_sgpr_workgroup_id_y 0
		.amdhsa_system_sgpr_workgroup_id_z 0
		.amdhsa_system_sgpr_workgroup_info 0
		.amdhsa_system_vgpr_workitem_id 0
		.amdhsa_next_free_vgpr 98
		.amdhsa_next_free_sgpr 32
		.amdhsa_reserve_vcc 1
		.amdhsa_reserve_flat_scratch 0
		.amdhsa_float_round_mode_32 0
		.amdhsa_float_round_mode_16_64 0
		.amdhsa_float_denorm_mode_32 3
		.amdhsa_float_denorm_mode_16_64 3
		.amdhsa_dx10_clamp 1
		.amdhsa_ieee_mode 1
		.amdhsa_fp16_overflow 0
		.amdhsa_exception_fp_ieee_invalid_op 0
		.amdhsa_exception_fp_denorm_src 0
		.amdhsa_exception_fp_ieee_div_zero 0
		.amdhsa_exception_fp_ieee_overflow 0
		.amdhsa_exception_fp_ieee_underflow 0
		.amdhsa_exception_fp_ieee_inexact 0
		.amdhsa_exception_int_div_zero 0
	.end_amdhsa_kernel
	.text
.Lfunc_end0:
	.size	fft_rtc_back_len1331_factors_11_11_11_wgs_242_tpt_121_halfLds_sp_op_CI_CI_sbrr_dirReg, .Lfunc_end0-fft_rtc_back_len1331_factors_11_11_11_wgs_242_tpt_121_halfLds_sp_op_CI_CI_sbrr_dirReg
                                        ; -- End function
	.section	.AMDGPU.csdata,"",@progbits
; Kernel info:
; codeLenInByte = 9724
; NumSgprs: 36
; NumVgprs: 98
; ScratchSize: 0
; MemoryBound: 0
; FloatMode: 240
; IeeeMode: 1
; LDSByteSize: 0 bytes/workgroup (compile time only)
; SGPRBlocks: 4
; VGPRBlocks: 24
; NumSGPRsForWavesPerEU: 36
; NumVGPRsForWavesPerEU: 98
; Occupancy: 2
; WaveLimiterHint : 1
; COMPUTE_PGM_RSRC2:SCRATCH_EN: 0
; COMPUTE_PGM_RSRC2:USER_SGPR: 6
; COMPUTE_PGM_RSRC2:TRAP_HANDLER: 0
; COMPUTE_PGM_RSRC2:TGID_X_EN: 1
; COMPUTE_PGM_RSRC2:TGID_Y_EN: 0
; COMPUTE_PGM_RSRC2:TGID_Z_EN: 0
; COMPUTE_PGM_RSRC2:TIDIG_COMP_CNT: 0
	.type	__hip_cuid_2a1199b8cfd0dd1e,@object ; @__hip_cuid_2a1199b8cfd0dd1e
	.section	.bss,"aw",@nobits
	.globl	__hip_cuid_2a1199b8cfd0dd1e
__hip_cuid_2a1199b8cfd0dd1e:
	.byte	0                               ; 0x0
	.size	__hip_cuid_2a1199b8cfd0dd1e, 1

	.ident	"AMD clang version 19.0.0git (https://github.com/RadeonOpenCompute/llvm-project roc-6.4.0 25133 c7fe45cf4b819c5991fe208aaa96edf142730f1d)"
	.section	".note.GNU-stack","",@progbits
	.addrsig
	.addrsig_sym __hip_cuid_2a1199b8cfd0dd1e
	.amdgpu_metadata
---
amdhsa.kernels:
  - .args:
      - .actual_access:  read_only
        .address_space:  global
        .offset:         0
        .size:           8
        .value_kind:     global_buffer
      - .offset:         8
        .size:           8
        .value_kind:     by_value
      - .actual_access:  read_only
        .address_space:  global
        .offset:         16
        .size:           8
        .value_kind:     global_buffer
      - .actual_access:  read_only
        .address_space:  global
        .offset:         24
        .size:           8
        .value_kind:     global_buffer
      - .actual_access:  read_only
        .address_space:  global
        .offset:         32
        .size:           8
        .value_kind:     global_buffer
      - .offset:         40
        .size:           8
        .value_kind:     by_value
      - .actual_access:  read_only
        .address_space:  global
        .offset:         48
        .size:           8
        .value_kind:     global_buffer
      - .actual_access:  read_only
        .address_space:  global
        .offset:         56
        .size:           8
        .value_kind:     global_buffer
      - .offset:         64
        .size:           4
        .value_kind:     by_value
      - .actual_access:  read_only
        .address_space:  global
        .offset:         72
        .size:           8
        .value_kind:     global_buffer
      - .actual_access:  read_only
        .address_space:  global
        .offset:         80
        .size:           8
        .value_kind:     global_buffer
      - .actual_access:  read_only
        .address_space:  global
        .offset:         88
        .size:           8
        .value_kind:     global_buffer
      - .actual_access:  write_only
        .address_space:  global
        .offset:         96
        .size:           8
        .value_kind:     global_buffer
    .group_segment_fixed_size: 0
    .kernarg_segment_align: 8
    .kernarg_segment_size: 104
    .language:       OpenCL C
    .language_version:
      - 2
      - 0
    .max_flat_workgroup_size: 242
    .name:           fft_rtc_back_len1331_factors_11_11_11_wgs_242_tpt_121_halfLds_sp_op_CI_CI_sbrr_dirReg
    .private_segment_fixed_size: 0
    .sgpr_count:     36
    .sgpr_spill_count: 0
    .symbol:         fft_rtc_back_len1331_factors_11_11_11_wgs_242_tpt_121_halfLds_sp_op_CI_CI_sbrr_dirReg.kd
    .uniform_work_group_size: 1
    .uses_dynamic_stack: false
    .vgpr_count:     98
    .vgpr_spill_count: 0
    .wavefront_size: 64
amdhsa.target:   amdgcn-amd-amdhsa--gfx906
amdhsa.version:
  - 1
  - 2
...

	.end_amdgpu_metadata
